;; amdgpu-corpus repo=ROCm/rocFFT kind=compiled arch=gfx950 opt=O3
	.text
	.amdgcn_target "amdgcn-amd-amdhsa--gfx950"
	.amdhsa_code_object_version 6
	.protected	fft_rtc_back_len156_factors_3_4_13_wgs_117_tpt_13_dp_op_CI_CI_unitstride_sbrr_dirReg ; -- Begin function fft_rtc_back_len156_factors_3_4_13_wgs_117_tpt_13_dp_op_CI_CI_unitstride_sbrr_dirReg
	.globl	fft_rtc_back_len156_factors_3_4_13_wgs_117_tpt_13_dp_op_CI_CI_unitstride_sbrr_dirReg
	.p2align	8
	.type	fft_rtc_back_len156_factors_3_4_13_wgs_117_tpt_13_dp_op_CI_CI_unitstride_sbrr_dirReg,@function
fft_rtc_back_len156_factors_3_4_13_wgs_117_tpt_13_dp_op_CI_CI_unitstride_sbrr_dirReg: ; @fft_rtc_back_len156_factors_3_4_13_wgs_117_tpt_13_dp_op_CI_CI_unitstride_sbrr_dirReg
; %bb.0:
	s_load_dwordx4 s[4:7], s[0:1], 0x58
	s_load_dwordx4 s[8:11], s[0:1], 0x0
	;; [unrolled: 1-line block ×3, first 2 shown]
	v_mul_u32_u24_e32 v1, 0x13b2, v0
	v_lshrrev_b32_e32 v2, 16, v1
	v_mad_u64_u32 v[48:49], s[2:3], s2, 9, v[2:3]
	v_mov_b32_e32 v2, 0
	v_mov_b32_e32 v49, v2
	s_waitcnt lgkmcnt(0)
	v_cmp_lt_u64_e64 s[2:3], s[10:11], 2
	v_mov_b64_e32 v[4:5], 0
	s_and_b64 vcc, exec, s[2:3]
	v_mov_b64_e32 v[64:65], v[4:5]
	v_mov_b64_e32 v[66:67], v[48:49]
	s_cbranch_vccnz .LBB0_8
; %bb.1:
	s_load_dwordx2 s[2:3], s[0:1], 0x10
	s_add_u32 s16, s14, 8
	s_addc_u32 s17, s15, 0
	s_add_u32 s18, s12, 8
	s_addc_u32 s19, s13, 0
	s_waitcnt lgkmcnt(0)
	s_add_u32 s20, s2, 8
	v_mov_b64_e32 v[4:5], 0
	s_addc_u32 s21, s3, 0
	s_mov_b64 s[22:23], 1
	v_mov_b64_e32 v[64:65], v[4:5]
	v_mov_b64_e32 v[6:7], v[48:49]
.LBB0_2:                                ; =>This Inner Loop Header: Depth=1
	s_load_dwordx2 s[24:25], s[20:21], 0x0
                                        ; implicit-def: $vgpr66_vgpr67
	s_waitcnt lgkmcnt(0)
	v_or_b32_e32 v3, s25, v7
	v_cmp_ne_u64_e32 vcc, 0, v[2:3]
	s_and_saveexec_b64 s[2:3], vcc
	s_xor_b64 s[26:27], exec, s[2:3]
	s_cbranch_execz .LBB0_4
; %bb.3:                                ;   in Loop: Header=BB0_2 Depth=1
	v_cvt_f32_u32_e32 v1, s24
	v_cvt_f32_u32_e32 v3, s25
	s_sub_u32 s2, 0, s24
	s_subb_u32 s3, 0, s25
	v_fmac_f32_e32 v1, 0x4f800000, v3
	v_rcp_f32_e32 v1, v1
	s_nop 0
	v_mul_f32_e32 v1, 0x5f7ffffc, v1
	v_mul_f32_e32 v3, 0x2f800000, v1
	v_trunc_f32_e32 v3, v3
	v_fmac_f32_e32 v1, 0xcf800000, v3
	v_cvt_u32_f32_e32 v3, v3
	v_cvt_u32_f32_e32 v1, v1
	v_mul_lo_u32 v8, s2, v3
	v_mul_hi_u32 v10, s2, v1
	v_mul_lo_u32 v9, s3, v1
	v_add_u32_e32 v10, v10, v8
	v_mul_lo_u32 v12, s2, v1
	v_add_u32_e32 v13, v10, v9
	v_mul_hi_u32 v8, v1, v12
	v_mul_hi_u32 v11, v1, v13
	v_mul_lo_u32 v10, v1, v13
	v_mov_b32_e32 v9, v2
	v_lshl_add_u64 v[8:9], v[8:9], 0, v[10:11]
	v_mul_hi_u32 v11, v3, v12
	v_mul_lo_u32 v12, v3, v12
	v_add_co_u32_e32 v8, vcc, v8, v12
	v_mul_hi_u32 v10, v3, v13
	s_nop 0
	v_addc_co_u32_e32 v8, vcc, v9, v11, vcc
	v_mov_b32_e32 v9, v2
	s_nop 0
	v_addc_co_u32_e32 v11, vcc, 0, v10, vcc
	v_mul_lo_u32 v10, v3, v13
	v_lshl_add_u64 v[8:9], v[8:9], 0, v[10:11]
	v_add_co_u32_e32 v1, vcc, v1, v8
	v_mul_lo_u32 v10, s2, v1
	s_nop 0
	v_addc_co_u32_e32 v3, vcc, v3, v9, vcc
	v_mul_lo_u32 v8, s2, v3
	v_mul_hi_u32 v9, s2, v1
	v_add_u32_e32 v8, v9, v8
	v_mul_lo_u32 v9, s3, v1
	v_add_u32_e32 v12, v8, v9
	v_mul_hi_u32 v14, v3, v10
	v_mul_lo_u32 v15, v3, v10
	v_mul_hi_u32 v9, v1, v12
	v_mul_lo_u32 v8, v1, v12
	v_mul_hi_u32 v10, v1, v10
	v_mov_b32_e32 v11, v2
	v_lshl_add_u64 v[8:9], v[10:11], 0, v[8:9]
	v_add_co_u32_e32 v8, vcc, v8, v15
	v_mul_hi_u32 v13, v3, v12
	s_nop 0
	v_addc_co_u32_e32 v8, vcc, v9, v14, vcc
	v_mul_lo_u32 v10, v3, v12
	s_nop 0
	v_addc_co_u32_e32 v11, vcc, 0, v13, vcc
	v_mov_b32_e32 v9, v2
	v_lshl_add_u64 v[8:9], v[8:9], 0, v[10:11]
	v_add_co_u32_e32 v1, vcc, v1, v8
	v_mul_hi_u32 v10, v6, v1
	s_nop 0
	v_addc_co_u32_e32 v3, vcc, v3, v9, vcc
	v_mad_u64_u32 v[8:9], s[2:3], v6, v3, 0
	v_mov_b32_e32 v11, v2
	v_lshl_add_u64 v[8:9], v[10:11], 0, v[8:9]
	v_mad_u64_u32 v[12:13], s[2:3], v7, v1, 0
	v_add_co_u32_e32 v1, vcc, v8, v12
	v_mad_u64_u32 v[10:11], s[2:3], v7, v3, 0
	s_nop 0
	v_addc_co_u32_e32 v8, vcc, v9, v13, vcc
	v_mov_b32_e32 v9, v2
	s_nop 0
	v_addc_co_u32_e32 v11, vcc, 0, v11, vcc
	v_lshl_add_u64 v[8:9], v[8:9], 0, v[10:11]
	v_mul_lo_u32 v1, s25, v8
	v_mul_lo_u32 v3, s24, v9
	v_mad_u64_u32 v[10:11], s[2:3], s24, v8, 0
	v_add3_u32 v1, v11, v3, v1
	v_sub_u32_e32 v3, v7, v1
	v_mov_b32_e32 v11, s25
	v_sub_co_u32_e32 v14, vcc, v6, v10
	v_lshl_add_u64 v[12:13], v[8:9], 0, 1
	s_nop 0
	v_subb_co_u32_e64 v3, s[2:3], v3, v11, vcc
	v_subrev_co_u32_e64 v10, s[2:3], s24, v14
	v_subb_co_u32_e32 v1, vcc, v7, v1, vcc
	s_nop 0
	v_subbrev_co_u32_e64 v3, s[2:3], 0, v3, s[2:3]
	v_cmp_le_u32_e64 s[2:3], s25, v3
	v_cmp_le_u32_e32 vcc, s25, v1
	s_nop 0
	v_cndmask_b32_e64 v11, 0, -1, s[2:3]
	v_cmp_le_u32_e64 s[2:3], s24, v10
	s_nop 1
	v_cndmask_b32_e64 v10, 0, -1, s[2:3]
	v_cmp_eq_u32_e64 s[2:3], s25, v3
	s_nop 1
	v_cndmask_b32_e64 v3, v11, v10, s[2:3]
	v_lshl_add_u64 v[10:11], v[8:9], 0, 2
	v_cmp_ne_u32_e64 s[2:3], 0, v3
	s_nop 1
	v_cndmask_b32_e64 v3, v13, v11, s[2:3]
	v_cndmask_b32_e64 v11, 0, -1, vcc
	v_cmp_le_u32_e32 vcc, s24, v14
	s_nop 1
	v_cndmask_b32_e64 v13, 0, -1, vcc
	v_cmp_eq_u32_e32 vcc, s25, v1
	s_nop 1
	v_cndmask_b32_e32 v1, v11, v13, vcc
	v_cmp_ne_u32_e32 vcc, 0, v1
	v_cndmask_b32_e64 v1, v12, v10, s[2:3]
	s_nop 0
	v_cndmask_b32_e32 v67, v9, v3, vcc
	v_cndmask_b32_e32 v66, v8, v1, vcc
.LBB0_4:                                ;   in Loop: Header=BB0_2 Depth=1
	s_andn2_saveexec_b64 s[2:3], s[26:27]
	s_cbranch_execz .LBB0_6
; %bb.5:                                ;   in Loop: Header=BB0_2 Depth=1
	v_cvt_f32_u32_e32 v1, s24
	s_sub_i32 s26, 0, s24
	v_mov_b32_e32 v67, v2
	v_rcp_iflag_f32_e32 v1, v1
	s_nop 0
	v_mul_f32_e32 v1, 0x4f7ffffe, v1
	v_cvt_u32_f32_e32 v1, v1
	v_mul_lo_u32 v3, s26, v1
	v_mul_hi_u32 v3, v1, v3
	v_add_u32_e32 v1, v1, v3
	v_mul_hi_u32 v1, v6, v1
	v_mul_lo_u32 v3, v1, s24
	v_sub_u32_e32 v3, v6, v3
	v_add_u32_e32 v8, 1, v1
	v_subrev_u32_e32 v9, s24, v3
	v_cmp_le_u32_e32 vcc, s24, v3
	s_nop 1
	v_cndmask_b32_e32 v3, v3, v9, vcc
	v_cndmask_b32_e32 v1, v1, v8, vcc
	v_add_u32_e32 v8, 1, v1
	v_cmp_le_u32_e32 vcc, s24, v3
	s_nop 1
	v_cndmask_b32_e32 v66, v1, v8, vcc
.LBB0_6:                                ;   in Loop: Header=BB0_2 Depth=1
	s_or_b64 exec, exec, s[2:3]
	v_mad_u64_u32 v[8:9], s[2:3], v66, s24, 0
	s_load_dwordx2 s[2:3], s[18:19], 0x0
	v_mul_lo_u32 v1, v67, s24
	v_mul_lo_u32 v3, v66, s25
	s_load_dwordx2 s[24:25], s[16:17], 0x0
	s_add_u32 s22, s22, 1
	v_add3_u32 v1, v9, v3, v1
	v_sub_co_u32_e32 v3, vcc, v6, v8
	s_addc_u32 s23, s23, 0
	s_nop 0
	v_subb_co_u32_e32 v1, vcc, v7, v1, vcc
	s_add_u32 s16, s16, 8
	s_waitcnt lgkmcnt(0)
	v_mul_lo_u32 v6, s2, v1
	v_mul_lo_u32 v7, s3, v3
	v_mad_u64_u32 v[4:5], s[2:3], s2, v3, v[4:5]
	s_addc_u32 s17, s17, 0
	v_add3_u32 v5, v7, v5, v6
	v_mul_lo_u32 v1, s24, v1
	v_mul_lo_u32 v6, s25, v3
	v_mad_u64_u32 v[64:65], s[2:3], s24, v3, v[64:65]
	s_add_u32 s18, s18, 8
	v_add3_u32 v65, v6, v65, v1
	s_addc_u32 s19, s19, 0
	v_mov_b64_e32 v[6:7], s[10:11]
	s_add_u32 s20, s20, 8
	v_cmp_ge_u64_e32 vcc, s[22:23], v[6:7]
	s_addc_u32 s21, s21, 0
	s_cbranch_vccnz .LBB0_8
; %bb.7:                                ;   in Loop: Header=BB0_2 Depth=1
	v_mov_b64_e32 v[6:7], v[66:67]
	s_branch .LBB0_2
.LBB0_8:
	s_load_dwordx2 s[0:1], s[0:1], 0x28
	s_lshl_b64 s[10:11], s[10:11], 3
	s_add_u32 s2, s14, s10
	s_addc_u32 s3, s15, s11
                                        ; implicit-def: $vgpr68
	s_waitcnt lgkmcnt(0)
	v_cmp_gt_u64_e32 vcc, s[0:1], v[66:67]
	v_cmp_le_u64_e64 s[0:1], s[0:1], v[66:67]
	s_and_saveexec_b64 s[14:15], s[0:1]
	s_xor_b64 s[0:1], exec, s[14:15]
; %bb.9:
	s_mov_b32 s14, 0x13b13b14
	v_mul_hi_u32 v1, v0, s14
	v_mul_u32_u24_e32 v1, 13, v1
	v_sub_u32_e32 v68, v0, v1
                                        ; implicit-def: $vgpr0
                                        ; implicit-def: $vgpr4_vgpr5
; %bb.10:
	s_or_saveexec_b64 s[0:1], s[0:1]
                                        ; implicit-def: $vgpr30_vgpr31
                                        ; implicit-def: $vgpr42_vgpr43
                                        ; implicit-def: $vgpr22_vgpr23
                                        ; implicit-def: $vgpr10_vgpr11
                                        ; implicit-def: $vgpr14_vgpr15
                                        ; implicit-def: $vgpr26_vgpr27
                                        ; implicit-def: $vgpr34_vgpr35
                                        ; implicit-def: $vgpr46_vgpr47
                                        ; implicit-def: $vgpr38_vgpr39
                                        ; implicit-def: $vgpr18_vgpr19
                                        ; implicit-def: $vgpr6_vgpr7
                                        ; implicit-def: $vgpr2_vgpr3
	s_xor_b64 exec, exec, s[0:1]
	s_cbranch_execz .LBB0_12
; %bb.11:
	s_add_u32 s10, s12, s10
	s_addc_u32 s11, s13, s11
	s_load_dwordx2 s[10:11], s[10:11], 0x0
	s_mov_b32 s12, 0x13b13b14
	s_waitcnt lgkmcnt(0)
	v_mul_lo_u32 v1, s11, v66
	v_mul_lo_u32 v6, s10, v67
	v_mad_u64_u32 v[2:3], s[10:11], s10, v66, 0
	v_add3_u32 v3, v3, v6, v1
	v_mul_hi_u32 v1, v0, s12
	v_mul_u32_u24_e32 v1, 13, v1
	v_sub_u32_e32 v68, v0, v1
	v_lshl_add_u64 v[0:1], v[2:3], 4, s[4:5]
	v_lshl_add_u64 v[0:1], v[4:5], 4, v[0:1]
	v_lshlrev_b32_e32 v2, 4, v68
	v_mov_b32_e32 v3, 0
	v_lshl_add_u64 v[50:51], v[0:1], 0, v[2:3]
	global_load_dwordx4 v[0:3], v[50:51], off
	global_load_dwordx4 v[4:7], v[50:51], off offset:208
	global_load_dwordx4 v[28:31], v[50:51], off offset:832
	;; [unrolled: 1-line block ×11, first 2 shown]
.LBB0_12:
	s_or_b64 exec, exec, s[0:1]
	s_mov_b32 s0, 0x38e38e39
	v_mul_hi_u32 v49, v48, s0
	v_lshrrev_b32_e32 v49, 1, v49
	v_lshl_add_u32 v49, v49, 3, v49
	v_sub_u32_e32 v58, v48, v49
	s_waitcnt vmcnt(9)
	v_add_f64 v[48:49], v[28:29], v[0:1]
	s_waitcnt vmcnt(7)
	v_add_f64 v[50:51], v[28:29], v[40:41]
	v_add_f64 v[52:53], v[30:31], -v[42:43]
	s_mov_b32 s0, 0xe8584caa
	v_add_f64 v[54:55], v[40:41], v[48:49]
	v_add_f64 v[48:49], v[30:31], v[2:3]
	;; [unrolled: 1-line block ×3, first 2 shown]
	v_fmac_f64_e32 v[0:1], -0.5, v[50:51]
	s_mov_b32 s1, 0xbfebb67a
	s_mov_b32 s11, 0x3febb67a
	;; [unrolled: 1-line block ×3, first 2 shown]
	v_fmac_f64_e32 v[2:3], -0.5, v[30:31]
	v_add_f64 v[28:29], v[28:29], -v[40:41]
	v_fma_f64 v[50:51], s[0:1], v[52:53], v[0:1]
	v_fmac_f64_e32 v[0:1], s[10:11], v[52:53]
	v_fma_f64 v[52:53], s[10:11], v[28:29], v[2:3]
	v_fmac_f64_e32 v[2:3], s[0:1], v[28:29]
	s_waitcnt vmcnt(6)
	v_add_f64 v[28:29], v[20:21], v[16:17]
	v_add_f64 v[30:31], v[16:17], v[4:5]
	v_fmac_f64_e32 v[4:5], -0.5, v[28:29]
	v_add_f64 v[40:41], v[18:19], -v[22:23]
	v_fma_f64 v[28:29], s[0:1], v[40:41], v[4:5]
	v_fmac_f64_e32 v[4:5], s[10:11], v[40:41]
	v_add_f64 v[40:41], v[20:21], v[30:31]
	v_add_f64 v[30:31], v[18:19], v[6:7]
	v_add_f64 v[18:19], v[22:23], v[18:19]
	v_fmac_f64_e32 v[6:7], -0.5, v[18:19]
	v_add_f64 v[16:17], v[16:17], -v[20:21]
	v_add_f64 v[56:57], v[42:43], v[48:49]
	v_add_f64 v[42:43], v[22:23], v[30:31]
	v_fma_f64 v[30:31], s[10:11], v[16:17], v[6:7]
	v_fmac_f64_e32 v[6:7], s[0:1], v[16:17]
	s_waitcnt vmcnt(1)
	v_add_f64 v[16:17], v[44:45], v[36:37]
	v_add_f64 v[18:19], v[8:9], v[36:37]
	v_fmac_f64_e32 v[8:9], -0.5, v[16:17]
	v_add_f64 v[20:21], v[38:39], -v[46:47]
	v_fma_f64 v[16:17], s[0:1], v[20:21], v[8:9]
	v_fmac_f64_e32 v[8:9], s[10:11], v[20:21]
	v_add_f64 v[20:21], v[44:45], v[18:19]
	v_add_f64 v[18:19], v[10:11], v[38:39]
	v_add_f64 v[22:23], v[46:47], v[18:19]
	v_add_f64 v[18:19], v[46:47], v[38:39]
	v_fmac_f64_e32 v[10:11], -0.5, v[18:19]
	v_add_f64 v[36:37], v[36:37], -v[44:45]
	s_waitcnt vmcnt(0)
	v_add_f64 v[38:39], v[24:25], v[32:33]
	v_mul_u32_u24_e32 v46, 0x9c, v58
	v_fma_f64 v[18:19], s[10:11], v[36:37], v[10:11]
	v_fmac_f64_e32 v[10:11], s[0:1], v[36:37]
	v_add_f64 v[36:37], v[12:13], v[24:25]
	v_fmac_f64_e32 v[12:13], -0.5, v[38:39]
	v_add_f64 v[38:39], v[26:27], -v[34:35]
	v_fma_f64 v[44:45], s[0:1], v[38:39], v[12:13]
	v_fmac_f64_e32 v[12:13], s[10:11], v[38:39]
	v_add_f64 v[38:39], v[14:15], v[26:27]
	v_add_f64 v[26:27], v[26:27], v[34:35]
	v_lshlrev_b32_e32 v46, 4, v46
	v_fmac_f64_e32 v[14:15], -0.5, v[26:27]
	v_add_f64 v[24:25], v[24:25], -v[32:33]
	v_add_u32_e32 v48, 0, v46
	v_fma_f64 v[26:27], s[10:11], v[24:25], v[14:15]
	v_fmac_f64_e32 v[14:15], s[0:1], v[24:25]
	v_mad_u32_u24 v24, v68, 48, v48
	s_movk_i32 s0, 0xab
	s_load_dwordx2 s[4:5], s[2:3], 0x0
	v_add_f64 v[36:37], v[36:37], v[32:33]
	v_add_f64 v[38:39], v[38:39], v[34:35]
	ds_write_b128 v24, v[54:57]
	ds_write_b128 v24, v[50:53] offset:16
	ds_write_b128 v24, v[0:3] offset:32
	;; [unrolled: 1-line block ×9, first 2 shown]
	ds_write2_b64 v24, v[44:45], v[26:27] offset0:236 offset1:237
	ds_write2_b64 v24, v[12:13], v[14:15] offset0:238 offset1:239
	v_mul_lo_u16_sdwa v0, v68, s0 dst_sel:DWORD dst_unused:UNUSED_PAD src0_sel:BYTE_0 src1_sel:DWORD
	v_lshrrev_b16_e32 v53, 9, v0
	v_mul_lo_u16_e32 v0, 3, v53
	v_sub_u16_e32 v69, v68, v0
	v_mul_lo_u16_e32 v0, 3, v69
	v_mov_b32_e32 v12, 4
	v_lshlrev_b32_sdwa v8, v12, v0 dst_sel:DWORD dst_unused:UNUSED_PAD src0_sel:DWORD src1_sel:BYTE_0
	v_add_u16_e32 v13, 13, v68
	s_waitcnt lgkmcnt(0)
	s_barrier
	global_load_dwordx4 v[0:3], v8, s[8:9]
	global_load_dwordx4 v[4:7], v8, s[8:9] offset:16
	v_mul_lo_u16_sdwa v14, v13, s0 dst_sel:DWORD dst_unused:UNUSED_PAD src0_sel:BYTE_0 src1_sel:DWORD
	v_lshrrev_b16_e32 v82, 9, v14
	v_mul_lo_u16_e32 v14, 3, v82
	v_sub_u16_e32 v83, v13, v14
	global_load_dwordx4 v[8:11], v8, s[8:9] offset:32
	v_mul_lo_u16_e32 v13, 3, v83
	v_lshlrev_b32_sdwa v24, v12, v13 dst_sel:DWORD dst_unused:UNUSED_PAD src0_sel:DWORD src1_sel:BYTE_0
	global_load_dwordx4 v[12:15], v24, s[8:9]
	global_load_dwordx4 v[16:19], v24, s[8:9] offset:16
	global_load_dwordx4 v[20:23], v24, s[8:9] offset:32
	v_add_u16_e32 v24, 26, v68
	v_mul_lo_u16_sdwa v25, v24, s0 dst_sel:DWORD dst_unused:UNUSED_PAD src0_sel:BYTE_0 src1_sel:DWORD
	v_lshrrev_b16_e32 v84, 9, v25
	v_mul_lo_u16_e32 v25, 3, v84
	v_sub_u16_e32 v85, v24, v25
	v_mov_b32_e32 v24, 3
	v_mul_u32_u24_sdwa v24, v85, v24 dst_sel:DWORD dst_unused:UNUSED_PAD src0_sel:BYTE_0 src1_sel:DWORD
	v_lshlrev_b32_e32 v36, 4, v24
	global_load_dwordx4 v[24:27], v36, s[8:9]
	global_load_dwordx4 v[28:31], v36, s[8:9] offset:16
	global_load_dwordx4 v[32:35], v36, s[8:9] offset:32
	v_lshlrev_b32_e32 v52, 4, v68
	v_add3_u32 v49, 0, v52, v46
	ds_read_b128 v[36:39], v49 offset:624
	ds_read_b128 v[40:43], v49 offset:1248
	;; [unrolled: 1-line block ×4, first 2 shown]
	v_add_u32_e32 v52, v48, v52
	v_cmp_gt_u32_e64 s[0:1], 12, v68
	s_waitcnt vmcnt(8) lgkmcnt(3)
	v_mul_f64 v[50:51], v[38:39], v[2:3]
	v_mul_f64 v[2:3], v[36:37], v[2:3]
	v_fmac_f64_e32 v[50:51], v[36:37], v[0:1]
	v_fma_f64 v[58:59], v[38:39], v[0:1], -v[2:3]
	ds_read_b128 v[0:3], v49 offset:1872
	ds_read_b128 v[36:39], v49 offset:1664
	s_waitcnt vmcnt(7) lgkmcnt(4)
	v_mul_f64 v[60:61], v[42:43], v[6:7]
	v_mul_f64 v[6:7], v[40:41], v[6:7]
	v_fmac_f64_e32 v[60:61], v[40:41], v[4:5]
	v_fma_f64 v[40:41], v[42:43], v[4:5], -v[6:7]
	ds_read_b128 v[4:7], v49 offset:832
	s_waitcnt vmcnt(6) lgkmcnt(2)
	v_mul_f64 v[42:43], v[2:3], v[10:11]
	v_fmac_f64_e32 v[42:43], v[0:1], v[8:9]
	v_mul_f64 v[0:1], v[0:1], v[10:11]
	v_fma_f64 v[62:63], v[2:3], v[8:9], -v[0:1]
	ds_read_b128 v[0:3], v49 offset:1040
	s_waitcnt vmcnt(4)
	v_mul_f64 v[74:75], v[46:47], v[18:19]
	v_mul_f64 v[8:9], v[44:45], v[18:19]
	v_fmac_f64_e32 v[74:75], v[44:45], v[16:17]
	v_fma_f64 v[44:45], v[46:47], v[16:17], -v[8:9]
	ds_read_b128 v[16:19], v49 offset:208
	s_waitcnt lgkmcnt(2)
	v_mul_f64 v[70:71], v[6:7], v[14:15]
	v_fmac_f64_e32 v[70:71], v[4:5], v[12:13]
	v_mul_f64 v[4:5], v[4:5], v[14:15]
	v_fma_f64 v[72:73], v[6:7], v[12:13], -v[4:5]
	ds_read_b128 v[4:7], v49 offset:2080
	s_waitcnt vmcnt(2) lgkmcnt(2)
	v_mul_f64 v[76:77], v[2:3], v[26:27]
	ds_read_b128 v[8:11], v49 offset:2288
	v_fmac_f64_e32 v[76:77], v[0:1], v[24:25]
	v_mul_f64 v[0:1], v[0:1], v[26:27]
	v_fma_f64 v[78:79], v[2:3], v[24:25], -v[0:1]
	s_waitcnt vmcnt(1)
	v_mul_f64 v[80:81], v[38:39], v[30:31]
	v_mul_f64 v[0:1], v[36:37], v[30:31]
	v_fmac_f64_e32 v[80:81], v[36:37], v[28:29]
	v_fma_f64 v[36:37], v[38:39], v[28:29], -v[0:1]
	ds_read_b128 v[0:3], v52
	s_waitcnt lgkmcnt(2)
	v_mul_f64 v[46:47], v[6:7], v[22:23]
	v_fmac_f64_e32 v[46:47], v[4:5], v[20:21]
	v_mul_f64 v[4:5], v[4:5], v[22:23]
	v_fma_f64 v[20:21], v[6:7], v[20:21], -v[4:5]
	s_waitcnt vmcnt(0) lgkmcnt(1)
	v_mul_f64 v[38:39], v[10:11], v[34:35]
	v_mul_f64 v[4:5], v[8:9], v[34:35]
	v_fmac_f64_e32 v[38:39], v[8:9], v[32:33]
	v_fma_f64 v[32:33], v[10:11], v[32:33], -v[4:5]
	v_add_f64 v[14:15], v[50:51], -v[42:43]
	s_waitcnt lgkmcnt(0)
	v_add_f64 v[10:11], v[2:3], -v[40:41]
	v_fma_f64 v[4:5], v[50:51], 2.0, -v[14:15]
	v_add_f64 v[30:31], v[70:71], -v[46:47]
	v_add_f64 v[40:41], v[54:55], -v[80:81]
	;; [unrolled: 1-line block ×6, first 2 shown]
	v_fma_f64 v[34:35], v[54:55], 2.0, -v[40:41]
	v_fma_f64 v[44:45], v[56:57], 2.0, -v[42:43]
	;; [unrolled: 1-line block ×4, first 2 shown]
	v_add_f64 v[36:37], v[34:35], -v[32:33]
	v_add_f64 v[38:39], v[44:45], -v[38:39]
	;; [unrolled: 1-line block ×4, first 2 shown]
	v_fma_f64 v[32:33], v[34:35], 2.0, -v[36:37]
	v_fma_f64 v[34:35], v[44:45], 2.0, -v[38:39]
	v_add_f64 v[44:45], v[40:41], v[50:51]
	v_mul_lo_u16_e32 v50, 12, v53
	v_fma_f64 v[0:1], v[0:1], 2.0, -v[8:9]
	v_fma_f64 v[2:3], v[2:3], 2.0, -v[10:11]
	v_fma_f64 v[6:7], v[58:59], 2.0, -v[12:13]
	v_or_b32_e32 v50, v50, v69
	v_add_f64 v[4:5], v[0:1], -v[4:5]
	v_add_f64 v[6:7], v[2:3], -v[6:7]
	v_and_b32_e32 v50, 0xff, v50
	v_fma_f64 v[0:1], v[0:1], 2.0, -v[4:5]
	v_fma_f64 v[2:3], v[2:3], 2.0, -v[6:7]
	v_add_f64 v[12:13], v[8:9], v[12:13]
	v_add_f64 v[14:15], v[10:11], -v[14:15]
	v_lshl_add_u32 v50, v50, 4, v48
	v_fma_f64 v[8:9], v[8:9], 2.0, -v[12:13]
	v_fma_f64 v[10:11], v[10:11], 2.0, -v[14:15]
	v_add_f64 v[24:25], v[16:17], -v[74:75]
	v_add_f64 v[28:29], v[72:73], -v[20:21]
	s_barrier
	ds_write_b128 v50, v[0:3]
	ds_write_b128 v50, v[8:11] offset:48
	ds_write_b128 v50, v[4:7] offset:96
	;; [unrolled: 1-line block ×3, first 2 shown]
	v_mul_lo_u16_e32 v50, 12, v82
	v_fma_f64 v[16:17], v[16:17], 2.0, -v[24:25]
	v_fma_f64 v[18:19], v[18:19], 2.0, -v[26:27]
	;; [unrolled: 1-line block ×4, first 2 shown]
	v_or_b32_e32 v50, v50, v83
	v_add_f64 v[20:21], v[16:17], -v[20:21]
	v_add_f64 v[22:23], v[18:19], -v[22:23]
	v_and_b32_e32 v50, 0xff, v50
	v_fma_f64 v[16:17], v[16:17], 2.0, -v[20:21]
	v_fma_f64 v[18:19], v[18:19], 2.0, -v[22:23]
	v_add_f64 v[28:29], v[24:25], v[28:29]
	v_add_f64 v[30:31], v[26:27], -v[30:31]
	v_lshl_add_u32 v50, v50, 4, v48
	v_fma_f64 v[24:25], v[24:25], 2.0, -v[28:29]
	v_fma_f64 v[26:27], v[26:27], 2.0, -v[30:31]
	ds_write_b128 v50, v[16:19]
	ds_write_b128 v50, v[24:27] offset:48
	ds_write_b128 v50, v[20:23] offset:96
	;; [unrolled: 1-line block ×3, first 2 shown]
	v_mul_u32_u24_e32 v50, 12, v84
	v_add_f64 v[46:47], v[42:43], -v[46:47]
	v_or_b32_sdwa v50, v50, v85 dst_sel:DWORD dst_unused:UNUSED_PAD src0_sel:DWORD src1_sel:BYTE_0
	v_fma_f64 v[40:41], v[40:41], 2.0, -v[44:45]
	v_fma_f64 v[42:43], v[42:43], 2.0, -v[46:47]
	v_lshl_add_u32 v48, v50, 4, v48
	ds_write_b128 v48, v[32:35]
	ds_write_b128 v48, v[40:43] offset:48
	ds_write_b128 v48, v[36:39] offset:96
	;; [unrolled: 1-line block ×3, first 2 shown]
	s_waitcnt lgkmcnt(0)
	s_barrier
	s_waitcnt lgkmcnt(0)
                                        ; implicit-def: $vgpr50_vgpr51
	s_and_saveexec_b64 s[2:3], s[0:1]
	s_cbranch_execz .LBB0_14
; %bb.13:
	ds_read_b128 v[0:3], v52
	ds_read_b128 v[8:11], v49 offset:192
	ds_read_b128 v[4:7], v49 offset:384
	;; [unrolled: 1-line block ×12, first 2 shown]
.LBB0_14:
	s_or_b64 exec, exec, s[2:3]
	v_cmp_gt_u32_e64 s[2:3], 12, v68
	s_and_b64 s[2:3], vcc, s[2:3]
	s_and_saveexec_b64 s[10:11], s[2:3]
	s_cbranch_execz .LBB0_16
; %bb.15:
	v_add_u32_e32 v52, -12, v68
	v_cndmask_b32_e64 v52, v52, v68, s[0:1]
	v_mul_i32_i24_e32 v70, 12, v52
	v_mov_b32_e32 v71, 0
	v_lshl_add_u64 v[72:73], v[70:71], 4, s[8:9]
	global_load_dwordx4 v[52:55], v[72:73], off offset:224
	global_load_dwordx4 v[60:63], v[72:73], off offset:240
	global_load_dwordx4 v[56:59], v[72:73], off offset:208
	global_load_dwordx4 v[92:95], v[72:73], off offset:256
	global_load_dwordx4 v[96:99], v[72:73], off offset:192
	global_load_dwordx4 v[100:103], v[72:73], off offset:272
	global_load_dwordx4 v[104:107], v[72:73], off offset:176
	global_load_dwordx4 v[108:111], v[72:73], off offset:288
	global_load_dwordx4 v[112:115], v[72:73], off offset:160
	global_load_dwordx4 v[116:119], v[72:73], off offset:304
	global_load_dwordx4 v[120:123], v[72:73], off offset:144
	global_load_dwordx4 v[124:127], v[72:73], off offset:320
	s_mov_b32 s10, 0x4bc48dbf
	s_mov_b32 s11, 0xbfcea1e5
	;; [unrolled: 1-line block ×32, first 2 shown]
	v_mov_b32_e32 v69, v71
	s_waitcnt vmcnt(11) lgkmcnt(6)
	v_mul_f64 v[72:73], v[22:23], v[54:55]
	v_mul_f64 v[90:91], v[20:21], v[54:55]
	s_waitcnt vmcnt(10) lgkmcnt(5)
	v_mul_f64 v[54:55], v[30:31], v[62:63]
	v_mul_f64 v[128:129], v[28:29], v[62:63]
	s_waitcnt vmcnt(9)
	v_mul_f64 v[62:63], v[26:27], v[58:59]
	v_mul_f64 v[130:131], v[24:25], v[58:59]
	s_waitcnt vmcnt(8) lgkmcnt(4)
	v_mul_f64 v[58:59], v[34:35], v[94:95]
	v_mul_f64 v[94:95], v[32:33], v[94:95]
	s_waitcnt vmcnt(7)
	v_mul_f64 v[76:77], v[18:19], v[98:99]
	v_mul_f64 v[98:99], v[16:17], v[98:99]
	s_waitcnt vmcnt(1)
	v_mul_f64 v[88:89], v[10:11], v[122:123]
	s_waitcnt vmcnt(0) lgkmcnt(0)
	v_mul_f64 v[84:85], v[50:51], v[126:127]
	v_mul_f64 v[78:79], v[38:39], v[110:111]
	;; [unrolled: 1-line block ×7, first 2 shown]
	v_fmac_f64_e32 v[88:89], v[8:9], v[120:121]
	v_fmac_f64_e32 v[84:85], v[48:49], v[124:125]
	v_mul_f64 v[74:75], v[42:43], v[102:103]
	v_mul_f64 v[102:103], v[40:41], v[102:103]
	;; [unrolled: 1-line block ×5, first 2 shown]
	v_fmac_f64_e32 v[72:73], v[20:21], v[52:53]
	v_fma_f64 v[52:53], v[22:23], v[52:53], -v[90:91]
	v_fmac_f64_e32 v[62:63], v[24:25], v[56:57]
	v_fma_f64 v[90:91], v[26:27], v[56:57], -v[130:131]
	;; [unrolled: 2-line block ×4, first 2 shown]
	v_fmac_f64_e32 v[78:79], v[36:37], v[108:109]
	v_fmac_f64_e32 v[86:87], v[4:5], v[112:113]
	v_fma_f64 v[96:97], v[6:7], v[112:113], -v[114:115]
	v_fmac_f64_e32 v[80:81], v[44:45], v[116:117]
	v_fma_f64 v[44:45], v[10:11], v[120:121], -v[122:123]
	v_fma_f64 v[36:37], v[50:51], v[124:125], -v[126:127]
	v_add_f64 v[112:113], v[88:89], -v[84:85]
	v_mul_f64 v[106:107], v[12:13], v[106:107]
	v_fmac_f64_e32 v[74:75], v[40:41], v[100:101]
	v_fma_f64 v[40:41], v[42:43], v[100:101], -v[102:103]
	v_fmac_f64_e32 v[82:83], v[12:13], v[104:105]
	v_fma_f64 v[42:43], v[46:47], v[116:117], -v[118:119]
	v_add_f64 v[46:47], v[44:45], v[36:37]
	v_add_f64 v[116:117], v[86:87], -v[80:81]
	v_mul_f64 v[8:9], v[112:113], s[10:11]
	v_fma_f64 v[94:95], v[14:15], v[104:105], -v[106:107]
	v_fma_f64 v[38:39], v[38:39], v[108:109], -v[110:111]
	v_add_f64 v[48:49], v[96:97], v[42:43]
	v_add_f64 v[108:109], v[82:83], -v[78:79]
	v_mul_f64 v[10:11], v[116:117], s[12:13]
	v_fma_f64 v[4:5], s[2:3], v[46:47], v[8:9]
	v_add_f64 v[50:51], v[94:95], v[38:39]
	v_mul_f64 v[12:13], v[108:109], s[14:15]
	v_fma_f64 v[6:7], s[0:1], v[48:49], v[10:11]
	v_add_f64 v[4:5], v[2:3], v[4:5]
	v_fma_f64 v[14:15], s[8:9], v[50:51], v[12:13]
	v_add_f64 v[4:5], v[6:7], v[4:5]
	v_add_f64 v[118:119], v[76:77], -v[74:75]
	v_add_f64 v[4:5], v[14:15], v[4:5]
	v_mul_f64 v[14:15], v[118:119], s[30:31]
	v_add_f64 v[98:99], v[92:93], v[40:41]
	v_add_f64 v[120:121], v[62:63], -v[58:59]
	v_fma_f64 v[6:7], s[16:17], v[98:99], v[14:15]
	v_mul_f64 v[16:17], v[120:121], s[20:21]
	v_add_f64 v[100:101], v[90:91], v[56:57]
	v_add_f64 v[124:125], v[44:45], -v[36:37]
	v_add_f64 v[4:5], v[6:7], v[4:5]
	v_fma_f64 v[6:7], s[18:19], v[100:101], v[16:17]
	v_add_f64 v[102:103], v[88:89], v[84:85]
	v_mul_f64 v[18:19], v[124:125], s[10:11]
	v_add_f64 v[132:133], v[96:97], -v[42:43]
	v_add_f64 v[4:5], v[6:7], v[4:5]
	v_fma_f64 v[6:7], v[102:103], s[2:3], -v[18:19]
	v_add_f64 v[104:105], v[86:87], v[80:81]
	v_mul_f64 v[20:21], v[132:133], s[12:13]
	v_fma_f64 v[8:9], v[46:47], s[2:3], -v[8:9]
	v_add_f64 v[6:7], v[0:1], v[6:7]
	v_fma_f64 v[22:23], v[104:105], s[0:1], -v[20:21]
	v_add_f64 v[126:127], v[94:95], -v[38:39]
	v_fma_f64 v[10:11], v[48:49], s[0:1], -v[10:11]
	v_add_f64 v[8:9], v[2:3], v[8:9]
	v_add_f64 v[6:7], v[22:23], v[6:7]
	;; [unrolled: 1-line block ×3, first 2 shown]
	v_mul_f64 v[22:23], v[126:127], s[14:15]
	v_add_f64 v[8:9], v[10:11], v[8:9]
	v_fma_f64 v[10:11], v[50:51], s[8:9], -v[12:13]
	v_fma_f64 v[24:25], v[106:107], s[8:9], -v[22:23]
	v_add_f64 v[130:131], v[92:93], -v[40:41]
	v_add_f64 v[8:9], v[10:11], v[8:9]
	v_fma_f64 v[10:11], v[98:99], s[16:17], -v[14:15]
	v_add_f64 v[6:7], v[24:25], v[6:7]
	v_add_f64 v[110:111], v[76:77], v[74:75]
	v_mul_f64 v[24:25], v[130:131], s[30:31]
	v_add_f64 v[8:9], v[10:11], v[8:9]
	v_fma_f64 v[10:11], v[100:101], s[18:19], -v[16:17]
	v_fmac_f64_e32 v[18:19], s[2:3], v[102:103]
	v_fmac_f64_e32 v[54:55], v[28:29], v[60:61]
	v_fma_f64 v[26:27], v[110:111], s[16:17], -v[24:25]
	v_add_f64 v[134:135], v[90:91], -v[56:57]
	v_add_f64 v[8:9], v[10:11], v[8:9]
	v_fmac_f64_e32 v[20:21], s[0:1], v[104:105]
	v_add_f64 v[10:11], v[0:1], v[18:19]
	v_fma_f64 v[60:61], v[30:31], v[60:61], -v[128:129]
	v_add_f64 v[6:7], v[26:27], v[6:7]
	v_add_f64 v[114:115], v[62:63], v[58:59]
	v_mul_f64 v[26:27], v[134:135], s[20:21]
	v_add_f64 v[136:137], v[72:73], -v[54:55]
	v_add_f64 v[10:11], v[20:21], v[10:11]
	v_fmac_f64_e32 v[22:23], s[8:9], v[106:107]
	v_fma_f64 v[28:29], v[114:115], s[18:19], -v[26:27]
	v_mul_f64 v[30:31], v[136:137], s[26:27]
	v_add_f64 v[128:129], v[52:53], v[60:61]
	v_add_f64 v[138:139], v[52:53], -v[60:61]
	v_add_f64 v[10:11], v[22:23], v[10:11]
	v_fmac_f64_e32 v[24:25], s[16:17], v[110:111]
	v_add_f64 v[28:29], v[28:29], v[6:7]
	v_fma_f64 v[6:7], s[22:23], v[128:129], v[30:31]
	v_add_f64 v[122:123], v[72:73], v[54:55]
	v_mul_f64 v[32:33], v[138:139], s[26:27]
	v_add_f64 v[10:11], v[24:25], v[10:11]
	v_fmac_f64_e32 v[26:27], s[18:19], v[114:115]
	v_add_f64 v[6:7], v[6:7], v[4:5]
	v_fma_f64 v[4:5], v[122:123], s[22:23], -v[32:33]
	v_add_f64 v[12:13], v[26:27], v[10:11]
	v_fma_f64 v[10:11], v[128:129], s[22:23], -v[30:31]
	v_fmac_f64_e32 v[32:33], s[22:23], v[122:123]
	v_mul_f64 v[16:17], v[112:113], s[14:15]
	v_add_f64 v[10:11], v[10:11], v[8:9]
	v_add_f64 v[8:9], v[32:33], v[12:13]
	v_fma_f64 v[12:13], s[8:9], v[46:47], v[16:17]
	v_mul_f64 v[18:19], v[116:117], s[26:27]
	v_add_f64 v[12:13], v[2:3], v[12:13]
	v_fma_f64 v[14:15], s[22:23], v[48:49], v[18:19]
	v_mul_f64 v[20:21], v[108:109], s[24:25]
	;; [unrolled: 3-line block ×5, first 2 shown]
	v_add_f64 v[4:5], v[4:5], v[28:29]
	v_add_f64 v[12:13], v[14:15], v[12:13]
	v_fma_f64 v[14:15], v[102:103], s[8:9], -v[26:27]
	v_mul_f64 v[28:29], v[132:133], s[26:27]
	v_fma_f64 v[16:17], v[46:47], s[8:9], -v[16:17]
	v_add_f64 v[14:15], v[0:1], v[14:15]
	v_fma_f64 v[30:31], v[104:105], s[22:23], -v[28:29]
	v_fma_f64 v[18:19], v[48:49], s[22:23], -v[18:19]
	v_add_f64 v[16:17], v[2:3], v[16:17]
	v_add_f64 v[14:15], v[30:31], v[14:15]
	v_mul_f64 v[30:31], v[126:127], s[24:25]
	v_add_f64 v[16:17], v[18:19], v[16:17]
	v_fma_f64 v[18:19], v[50:51], s[16:17], -v[20:21]
	v_fma_f64 v[32:33], v[106:107], s[16:17], -v[30:31]
	v_add_f64 v[16:17], v[18:19], v[16:17]
	v_fma_f64 v[18:19], v[98:99], s[2:3], -v[22:23]
	v_add_f64 v[14:15], v[32:33], v[14:15]
	v_mul_f64 v[32:33], v[130:131], s[36:37]
	v_add_f64 v[16:17], v[18:19], v[16:17]
	v_fma_f64 v[18:19], v[100:101], s[0:1], -v[24:25]
	v_fmac_f64_e32 v[26:27], s[8:9], v[102:103]
	v_fma_f64 v[34:35], v[110:111], s[2:3], -v[32:33]
	v_add_f64 v[16:17], v[18:19], v[16:17]
	v_fmac_f64_e32 v[28:29], s[22:23], v[104:105]
	v_add_f64 v[18:19], v[0:1], v[26:27]
	v_add_f64 v[14:15], v[34:35], v[14:15]
	v_mul_f64 v[34:35], v[134:135], s[12:13]
	v_add_f64 v[18:19], v[28:29], v[18:19]
	v_fmac_f64_e32 v[30:31], s[16:17], v[106:107]
	v_fma_f64 v[140:141], v[114:115], s[0:1], -v[34:35]
	v_mul_f64 v[142:143], v[136:137], s[20:21]
	v_add_f64 v[18:19], v[30:31], v[18:19]
	v_fmac_f64_e32 v[32:33], s[2:3], v[110:111]
	v_add_f64 v[140:141], v[140:141], v[14:15]
	v_fma_f64 v[14:15], s[18:19], v[128:129], v[142:143]
	v_mul_f64 v[144:145], v[138:139], s[20:21]
	v_add_f64 v[18:19], v[32:33], v[18:19]
	v_fmac_f64_e32 v[34:35], s[0:1], v[114:115]
	v_add_f64 v[14:15], v[14:15], v[12:13]
	v_fma_f64 v[12:13], v[122:123], s[18:19], -v[144:145]
	v_add_f64 v[20:21], v[34:35], v[18:19]
	v_fma_f64 v[18:19], v[128:129], s[18:19], -v[142:143]
	v_fmac_f64_e32 v[144:145], s[18:19], v[122:123]
	v_mul_f64 v[24:25], v[112:113], s[20:21]
	v_add_f64 v[18:19], v[18:19], v[16:17]
	v_add_f64 v[16:17], v[144:145], v[20:21]
	v_fma_f64 v[20:21], s[18:19], v[46:47], v[24:25]
	v_mul_f64 v[26:27], v[116:117], s[34:35]
	v_add_f64 v[20:21], v[2:3], v[20:21]
	v_fma_f64 v[22:23], s[8:9], v[48:49], v[26:27]
	v_mul_f64 v[28:29], v[108:109], s[12:13]
	;; [unrolled: 3-line block ×5, first 2 shown]
	v_add_f64 v[12:13], v[12:13], v[140:141]
	v_add_f64 v[20:21], v[22:23], v[20:21]
	v_fma_f64 v[22:23], v[102:103], s[18:19], -v[34:35]
	v_mul_f64 v[140:141], v[132:133], s[34:35]
	v_fma_f64 v[24:25], v[46:47], s[18:19], -v[24:25]
	v_add_f64 v[22:23], v[0:1], v[22:23]
	v_fma_f64 v[142:143], v[104:105], s[8:9], -v[140:141]
	v_fma_f64 v[26:27], v[48:49], s[8:9], -v[26:27]
	v_add_f64 v[24:25], v[2:3], v[24:25]
	v_add_f64 v[22:23], v[142:143], v[22:23]
	v_mul_f64 v[142:143], v[126:127], s[12:13]
	v_add_f64 v[24:25], v[26:27], v[24:25]
	v_fma_f64 v[26:27], v[50:51], s[0:1], -v[28:29]
	v_fma_f64 v[144:145], v[106:107], s[0:1], -v[142:143]
	v_add_f64 v[24:25], v[26:27], v[24:25]
	v_fma_f64 v[26:27], v[98:99], s[22:23], -v[30:31]
	v_add_f64 v[22:23], v[144:145], v[22:23]
	v_mul_f64 v[144:145], v[130:131], s[28:29]
	v_add_f64 v[24:25], v[26:27], v[24:25]
	v_fma_f64 v[26:27], v[100:101], s[2:3], -v[32:33]
	v_fmac_f64_e32 v[34:35], s[18:19], v[102:103]
	v_fma_f64 v[146:147], v[110:111], s[22:23], -v[144:145]
	v_add_f64 v[24:25], v[26:27], v[24:25]
	v_fmac_f64_e32 v[140:141], s[8:9], v[104:105]
	v_add_f64 v[26:27], v[0:1], v[34:35]
	v_add_f64 v[22:23], v[146:147], v[22:23]
	v_mul_f64 v[146:147], v[134:135], s[36:37]
	v_add_f64 v[26:27], v[140:141], v[26:27]
	v_fmac_f64_e32 v[142:143], s[0:1], v[106:107]
	v_fma_f64 v[148:149], v[114:115], s[2:3], -v[146:147]
	v_mul_f64 v[150:151], v[136:137], s[30:31]
	v_add_f64 v[26:27], v[142:143], v[26:27]
	v_fmac_f64_e32 v[144:145], s[22:23], v[110:111]
	v_add_f64 v[148:149], v[148:149], v[22:23]
	v_fma_f64 v[22:23], s[16:17], v[128:129], v[150:151]
	v_mul_f64 v[152:153], v[138:139], s[30:31]
	v_add_f64 v[26:27], v[144:145], v[26:27]
	v_fmac_f64_e32 v[146:147], s[2:3], v[114:115]
	v_add_f64 v[22:23], v[22:23], v[20:21]
	v_fma_f64 v[20:21], v[122:123], s[16:17], -v[152:153]
	v_add_f64 v[28:29], v[146:147], v[26:27]
	v_fma_f64 v[26:27], v[128:129], s[16:17], -v[150:151]
	v_fmac_f64_e32 v[152:153], s[16:17], v[122:123]
	v_mul_f64 v[32:33], v[112:113], s[28:29]
	v_add_f64 v[26:27], v[26:27], v[24:25]
	v_add_f64 v[24:25], v[152:153], v[28:29]
	v_fma_f64 v[28:29], s[22:23], v[46:47], v[32:33]
	v_mul_f64 v[34:35], v[116:117], s[10:11]
	s_mov_b32 s31, 0x3fedeba7
	s_mov_b32 s30, s20
	v_add_f64 v[28:29], v[2:3], v[28:29]
	v_fma_f64 v[30:31], s[2:3], v[48:49], v[34:35]
	v_mul_f64 v[140:141], v[108:109], s[30:31]
	v_add_f64 v[28:29], v[30:31], v[28:29]
	v_fma_f64 v[30:31], s[18:19], v[50:51], v[140:141]
	v_mul_f64 v[142:143], v[118:119], s[12:13]
	;; [unrolled: 3-line block ×4, first 2 shown]
	v_add_f64 v[20:21], v[20:21], v[148:149]
	v_add_f64 v[28:29], v[30:31], v[28:29]
	v_fma_f64 v[30:31], v[102:103], s[22:23], -v[146:147]
	v_mul_f64 v[148:149], v[132:133], s[10:11]
	v_fma_f64 v[32:33], v[46:47], s[22:23], -v[32:33]
	v_add_f64 v[30:31], v[0:1], v[30:31]
	v_fma_f64 v[150:151], v[104:105], s[2:3], -v[148:149]
	v_fma_f64 v[34:35], v[48:49], s[2:3], -v[34:35]
	v_add_f64 v[32:33], v[2:3], v[32:33]
	v_add_f64 v[30:31], v[150:151], v[30:31]
	v_mul_f64 v[150:151], v[126:127], s[30:31]
	v_add_f64 v[32:33], v[34:35], v[32:33]
	v_fma_f64 v[34:35], v[50:51], s[18:19], -v[140:141]
	v_fma_f64 v[152:153], v[106:107], s[18:19], -v[150:151]
	v_add_f64 v[32:33], v[34:35], v[32:33]
	v_fma_f64 v[34:35], v[98:99], s[0:1], -v[142:143]
	v_add_f64 v[30:31], v[152:153], v[30:31]
	v_mul_f64 v[152:153], v[130:131], s[12:13]
	v_add_f64 v[32:33], v[34:35], v[32:33]
	v_fma_f64 v[34:35], v[100:101], s[16:17], -v[144:145]
	v_fmac_f64_e32 v[146:147], s[22:23], v[102:103]
	v_fma_f64 v[154:155], v[110:111], s[0:1], -v[152:153]
	v_add_f64 v[32:33], v[34:35], v[32:33]
	v_fmac_f64_e32 v[148:149], s[2:3], v[104:105]
	v_add_f64 v[34:35], v[0:1], v[146:147]
	v_add_f64 v[30:31], v[154:155], v[30:31]
	v_mul_f64 v[154:155], v[134:135], s[24:25]
	v_add_f64 v[34:35], v[148:149], v[34:35]
	v_fmac_f64_e32 v[150:151], s[18:19], v[106:107]
	v_fma_f64 v[156:157], v[114:115], s[16:17], -v[154:155]
	v_mul_f64 v[158:159], v[136:137], s[14:15]
	v_add_f64 v[34:35], v[150:151], v[34:35]
	v_fmac_f64_e32 v[152:153], s[0:1], v[110:111]
	v_add_f64 v[156:157], v[156:157], v[30:31]
	v_fma_f64 v[30:31], s[8:9], v[128:129], v[158:159]
	v_mul_f64 v[160:161], v[138:139], s[14:15]
	v_add_f64 v[34:35], v[152:153], v[34:35]
	v_fmac_f64_e32 v[154:155], s[16:17], v[114:115]
	v_add_f64 v[30:31], v[30:31], v[28:29]
	v_fma_f64 v[28:29], v[122:123], s[8:9], -v[160:161]
	v_add_f64 v[140:141], v[154:155], v[34:35]
	v_fma_f64 v[34:35], v[128:129], s[8:9], -v[158:159]
	v_fmac_f64_e32 v[160:161], s[8:9], v[122:123]
	v_mul_f64 v[144:145], v[112:113], s[24:25]
	v_add_f64 v[34:35], v[34:35], v[32:33]
	v_add_f64 v[32:33], v[160:161], v[140:141]
	v_fma_f64 v[140:141], s[16:17], v[46:47], v[144:145]
	v_mul_f64 v[146:147], v[116:117], s[20:21]
	v_add_f64 v[140:141], v[2:3], v[140:141]
	v_fma_f64 v[142:143], s[18:19], v[48:49], v[146:147]
	v_mul_f64 v[148:149], v[108:109], s[10:11]
	v_add_f64 v[140:141], v[142:143], v[140:141]
	v_fma_f64 v[142:143], s[2:3], v[50:51], v[148:149]
	v_mul_f64 v[150:151], v[118:119], s[34:35]
	v_add_f64 v[140:141], v[142:143], v[140:141]
	v_fma_f64 v[142:143], s[8:9], v[98:99], v[150:151]
	v_mul_f64 v[152:153], v[120:121], s[26:27]
	v_add_f64 v[140:141], v[142:143], v[140:141]
	v_fma_f64 v[142:143], s[22:23], v[100:101], v[152:153]
	v_mul_f64 v[154:155], v[124:125], s[24:25]
	v_add_f64 v[28:29], v[28:29], v[156:157]
	v_add_f64 v[140:141], v[142:143], v[140:141]
	v_fma_f64 v[142:143], v[102:103], s[16:17], -v[154:155]
	v_mul_f64 v[156:157], v[132:133], s[20:21]
	v_fma_f64 v[144:145], v[46:47], s[16:17], -v[144:145]
	v_add_f64 v[142:143], v[0:1], v[142:143]
	v_fma_f64 v[158:159], v[104:105], s[18:19], -v[156:157]
	v_fma_f64 v[146:147], v[48:49], s[18:19], -v[146:147]
	v_add_f64 v[144:145], v[2:3], v[144:145]
	v_add_f64 v[142:143], v[158:159], v[142:143]
	v_mul_f64 v[158:159], v[126:127], s[10:11]
	v_add_f64 v[144:145], v[146:147], v[144:145]
	v_fma_f64 v[146:147], v[50:51], s[2:3], -v[148:149]
	v_fma_f64 v[160:161], v[106:107], s[2:3], -v[158:159]
	v_add_f64 v[144:145], v[146:147], v[144:145]
	v_fma_f64 v[146:147], v[98:99], s[8:9], -v[150:151]
	v_add_f64 v[142:143], v[160:161], v[142:143]
	v_mul_f64 v[160:161], v[130:131], s[34:35]
	v_add_f64 v[144:145], v[146:147], v[144:145]
	v_fma_f64 v[146:147], v[100:101], s[22:23], -v[152:153]
	v_fmac_f64_e32 v[154:155], s[16:17], v[102:103]
	v_fma_f64 v[162:163], v[110:111], s[8:9], -v[160:161]
	v_add_f64 v[144:145], v[146:147], v[144:145]
	v_fmac_f64_e32 v[156:157], s[18:19], v[104:105]
	v_add_f64 v[146:147], v[0:1], v[154:155]
	v_add_f64 v[142:143], v[162:163], v[142:143]
	v_mul_f64 v[162:163], v[134:135], s[26:27]
	v_add_f64 v[146:147], v[156:157], v[146:147]
	v_fmac_f64_e32 v[158:159], s[2:3], v[106:107]
	v_fma_f64 v[164:165], v[114:115], s[22:23], -v[162:163]
	v_mul_f64 v[166:167], v[136:137], s[12:13]
	v_add_f64 v[146:147], v[158:159], v[146:147]
	v_fmac_f64_e32 v[160:161], s[8:9], v[110:111]
	v_add_f64 v[164:165], v[164:165], v[142:143]
	v_fma_f64 v[142:143], s[0:1], v[128:129], v[166:167]
	v_mul_f64 v[168:169], v[138:139], s[12:13]
	v_add_f64 v[146:147], v[160:161], v[146:147]
	v_fmac_f64_e32 v[162:163], s[22:23], v[114:115]
	s_mov_b32 s13, 0xbfddbe06
	v_add_f64 v[142:143], v[142:143], v[140:141]
	v_fma_f64 v[140:141], v[122:123], s[0:1], -v[168:169]
	v_add_f64 v[148:149], v[162:163], v[146:147]
	v_fma_f64 v[146:147], v[128:129], s[0:1], -v[166:167]
	v_fmac_f64_e32 v[168:169], s[0:1], v[122:123]
	v_mul_f64 v[112:113], v[112:113], s[12:13]
	v_add_f64 v[146:147], v[146:147], v[144:145]
	v_add_f64 v[144:145], v[168:169], v[148:149]
	v_mul_f64 v[148:149], v[116:117], s[24:25]
	v_fma_f64 v[116:117], s[0:1], v[46:47], v[112:113]
	v_add_f64 v[116:117], v[2:3], v[116:117]
	v_fma_f64 v[150:151], s[16:17], v[48:49], v[148:149]
	v_mul_f64 v[108:109], v[108:109], s[28:29]
	v_add_f64 v[116:117], v[150:151], v[116:117]
	v_fma_f64 v[150:151], s[22:23], v[50:51], v[108:109]
	v_fma_f64 v[46:47], v[46:47], s[0:1], -v[112:113]
	v_add_f64 v[116:117], v[150:151], v[116:117]
	v_mul_f64 v[150:151], v[118:119], s[20:21]
	v_add_f64 v[46:47], v[2:3], v[46:47]
	v_add_f64 v[2:3], v[2:3], v[44:45]
	v_fma_f64 v[118:119], s[18:19], v[98:99], v[150:151]
	v_mul_f64 v[120:121], v[120:121], s[14:15]
	v_add_f64 v[2:3], v[96:97], v[2:3]
	v_add_f64 v[116:117], v[118:119], v[116:117]
	v_fma_f64 v[118:119], s[8:9], v[100:101], v[120:121]
	v_mul_f64 v[124:125], v[124:125], s[12:13]
	v_add_f64 v[2:3], v[94:95], v[2:3]
	v_add_f64 v[116:117], v[118:119], v[116:117]
	v_fma_f64 v[118:119], v[102:103], s[0:1], -v[124:125]
	v_fma_f64 v[48:49], v[48:49], s[16:17], -v[148:149]
	v_fmac_f64_e32 v[124:125], s[0:1], v[102:103]
	v_add_f64 v[2:3], v[92:93], v[2:3]
	v_add_f64 v[118:119], v[0:1], v[118:119]
	;; [unrolled: 1-line block ×14, first 2 shown]
	v_mul_f64 v[132:133], v[132:133], s[24:25]
	v_add_f64 v[2:3], v[38:39], v[2:3]
	v_add_f64 v[0:1], v[72:73], v[0:1]
	v_fma_f64 v[152:153], v[104:105], s[16:17], -v[132:133]
	v_mul_f64 v[126:127], v[126:127], s[28:29]
	v_add_f64 v[2:3], v[42:43], v[2:3]
	v_add_f64 v[0:1], v[54:55], v[0:1]
	;; [unrolled: 1-line block ×3, first 2 shown]
	v_fma_f64 v[152:153], v[106:107], s[22:23], -v[126:127]
	v_mul_f64 v[130:131], v[130:131], s[20:21]
	v_fmac_f64_e32 v[132:133], s[16:17], v[104:105]
	v_add_f64 v[0:1], v[58:59], v[0:1]
	v_add_f64 v[2:3], v[36:37], v[2:3]
	v_mul_lo_u32 v38, s5, v66
	v_mul_lo_u32 v39, s4, v67
	v_mad_u64_u32 v[36:37], s[0:1], s4, v66, 0
	v_add_f64 v[118:119], v[152:153], v[118:119]
	v_fma_f64 v[152:153], v[110:111], s[18:19], -v[130:131]
	v_mul_f64 v[134:135], v[134:135], s[14:15]
	v_fma_f64 v[50:51], v[50:51], s[22:23], -v[108:109]
	v_fmac_f64_e32 v[126:127], s[22:23], v[106:107]
	v_add_f64 v[48:49], v[132:133], v[48:49]
	v_add_f64 v[0:1], v[74:75], v[0:1]
	v_add3_u32 v37, v37, v39, v38
	v_add_f64 v[118:119], v[152:153], v[118:119]
	v_fma_f64 v[152:153], v[114:115], s[8:9], -v[134:135]
	v_mul_f64 v[136:137], v[136:137], s[10:11]
	v_fma_f64 v[98:99], v[98:99], s[18:19], -v[150:151]
	v_add_f64 v[46:47], v[50:51], v[46:47]
	v_fmac_f64_e32 v[130:131], s[18:19], v[110:111]
	v_add_f64 v[48:49], v[126:127], v[48:49]
	v_add_f64 v[0:1], v[78:79], v[0:1]
	v_lshl_add_u64 v[36:37], v[36:37], 4, s[6:7]
	v_add_f64 v[152:153], v[152:153], v[118:119]
	v_fma_f64 v[118:119], s[2:3], v[128:129], v[136:137]
	v_mul_f64 v[138:139], v[138:139], s[10:11]
	v_fma_f64 v[100:101], v[100:101], s[8:9], -v[120:121]
	v_add_f64 v[46:47], v[98:99], v[46:47]
	v_fmac_f64_e32 v[134:135], s[8:9], v[114:115]
	v_add_f64 v[48:49], v[130:131], v[48:49]
	v_add_f64 v[0:1], v[80:81], v[0:1]
	v_lshl_add_u64 v[36:37], v[64:65], 4, v[36:37]
	v_add_f64 v[118:119], v[118:119], v[116:117]
	v_fma_f64 v[116:117], v[122:123], s[2:3], -v[138:139]
	v_fma_f64 v[128:129], v[128:129], s[2:3], -v[136:137]
	v_add_f64 v[46:47], v[100:101], v[46:47]
	v_fmac_f64_e32 v[138:139], s[2:3], v[122:123]
	v_add_f64 v[50:51], v[134:135], v[48:49]
	v_add_f64 v[0:1], v[84:85], v[0:1]
	v_lshl_add_u64 v[36:37], v[68:69], 4, v[36:37]
	v_add_f64 v[140:141], v[140:141], v[164:165]
	v_add_f64 v[116:117], v[116:117], v[152:153]
	;; [unrolled: 1-line block ×4, first 2 shown]
	global_store_dwordx4 v[36:37], v[0:3], off
	global_store_dwordx4 v[36:37], v[46:49], off offset:192
	global_store_dwordx4 v[36:37], v[144:147], off offset:384
	;; [unrolled: 1-line block ×12, first 2 shown]
.LBB0_16:
	s_endpgm
	.section	.rodata,"a",@progbits
	.p2align	6, 0x0
	.amdhsa_kernel fft_rtc_back_len156_factors_3_4_13_wgs_117_tpt_13_dp_op_CI_CI_unitstride_sbrr_dirReg
		.amdhsa_group_segment_fixed_size 0
		.amdhsa_private_segment_fixed_size 0
		.amdhsa_kernarg_size 104
		.amdhsa_user_sgpr_count 2
		.amdhsa_user_sgpr_dispatch_ptr 0
		.amdhsa_user_sgpr_queue_ptr 0
		.amdhsa_user_sgpr_kernarg_segment_ptr 1
		.amdhsa_user_sgpr_dispatch_id 0
		.amdhsa_user_sgpr_kernarg_preload_length 0
		.amdhsa_user_sgpr_kernarg_preload_offset 0
		.amdhsa_user_sgpr_private_segment_size 0
		.amdhsa_uses_dynamic_stack 0
		.amdhsa_enable_private_segment 0
		.amdhsa_system_sgpr_workgroup_id_x 1
		.amdhsa_system_sgpr_workgroup_id_y 0
		.amdhsa_system_sgpr_workgroup_id_z 0
		.amdhsa_system_sgpr_workgroup_info 0
		.amdhsa_system_vgpr_workitem_id 0
		.amdhsa_next_free_vgpr 170
		.amdhsa_next_free_sgpr 38
		.amdhsa_accum_offset 172
		.amdhsa_reserve_vcc 1
		.amdhsa_float_round_mode_32 0
		.amdhsa_float_round_mode_16_64 0
		.amdhsa_float_denorm_mode_32 3
		.amdhsa_float_denorm_mode_16_64 3
		.amdhsa_dx10_clamp 1
		.amdhsa_ieee_mode 1
		.amdhsa_fp16_overflow 0
		.amdhsa_tg_split 0
		.amdhsa_exception_fp_ieee_invalid_op 0
		.amdhsa_exception_fp_denorm_src 0
		.amdhsa_exception_fp_ieee_div_zero 0
		.amdhsa_exception_fp_ieee_overflow 0
		.amdhsa_exception_fp_ieee_underflow 0
		.amdhsa_exception_fp_ieee_inexact 0
		.amdhsa_exception_int_div_zero 0
	.end_amdhsa_kernel
	.text
.Lfunc_end0:
	.size	fft_rtc_back_len156_factors_3_4_13_wgs_117_tpt_13_dp_op_CI_CI_unitstride_sbrr_dirReg, .Lfunc_end0-fft_rtc_back_len156_factors_3_4_13_wgs_117_tpt_13_dp_op_CI_CI_unitstride_sbrr_dirReg
                                        ; -- End function
	.section	.AMDGPU.csdata,"",@progbits
; Kernel info:
; codeLenInByte = 7384
; NumSgprs: 44
; NumVgprs: 170
; NumAgprs: 0
; TotalNumVgprs: 170
; ScratchSize: 0
; MemoryBound: 1
; FloatMode: 240
; IeeeMode: 1
; LDSByteSize: 0 bytes/workgroup (compile time only)
; SGPRBlocks: 5
; VGPRBlocks: 21
; NumSGPRsForWavesPerEU: 44
; NumVGPRsForWavesPerEU: 170
; AccumOffset: 172
; Occupancy: 2
; WaveLimiterHint : 1
; COMPUTE_PGM_RSRC2:SCRATCH_EN: 0
; COMPUTE_PGM_RSRC2:USER_SGPR: 2
; COMPUTE_PGM_RSRC2:TRAP_HANDLER: 0
; COMPUTE_PGM_RSRC2:TGID_X_EN: 1
; COMPUTE_PGM_RSRC2:TGID_Y_EN: 0
; COMPUTE_PGM_RSRC2:TGID_Z_EN: 0
; COMPUTE_PGM_RSRC2:TIDIG_COMP_CNT: 0
; COMPUTE_PGM_RSRC3_GFX90A:ACCUM_OFFSET: 42
; COMPUTE_PGM_RSRC3_GFX90A:TG_SPLIT: 0
	.text
	.p2alignl 6, 3212836864
	.fill 256, 4, 3212836864
	.type	__hip_cuid_4786c7da82078a1a,@object ; @__hip_cuid_4786c7da82078a1a
	.section	.bss,"aw",@nobits
	.globl	__hip_cuid_4786c7da82078a1a
__hip_cuid_4786c7da82078a1a:
	.byte	0                               ; 0x0
	.size	__hip_cuid_4786c7da82078a1a, 1

	.ident	"AMD clang version 19.0.0git (https://github.com/RadeonOpenCompute/llvm-project roc-6.4.0 25133 c7fe45cf4b819c5991fe208aaa96edf142730f1d)"
	.section	".note.GNU-stack","",@progbits
	.addrsig
	.addrsig_sym __hip_cuid_4786c7da82078a1a
	.amdgpu_metadata
---
amdhsa.kernels:
  - .agpr_count:     0
    .args:
      - .actual_access:  read_only
        .address_space:  global
        .offset:         0
        .size:           8
        .value_kind:     global_buffer
      - .offset:         8
        .size:           8
        .value_kind:     by_value
      - .actual_access:  read_only
        .address_space:  global
        .offset:         16
        .size:           8
        .value_kind:     global_buffer
      - .actual_access:  read_only
        .address_space:  global
        .offset:         24
        .size:           8
        .value_kind:     global_buffer
      - .actual_access:  read_only
        .address_space:  global
        .offset:         32
        .size:           8
        .value_kind:     global_buffer
      - .offset:         40
        .size:           8
        .value_kind:     by_value
      - .actual_access:  read_only
        .address_space:  global
        .offset:         48
        .size:           8
        .value_kind:     global_buffer
      - .actual_access:  read_only
        .address_space:  global
        .offset:         56
        .size:           8
        .value_kind:     global_buffer
      - .offset:         64
        .size:           4
        .value_kind:     by_value
      - .actual_access:  read_only
        .address_space:  global
        .offset:         72
        .size:           8
        .value_kind:     global_buffer
      - .actual_access:  read_only
        .address_space:  global
        .offset:         80
        .size:           8
        .value_kind:     global_buffer
      - .actual_access:  read_only
        .address_space:  global
        .offset:         88
        .size:           8
        .value_kind:     global_buffer
      - .actual_access:  write_only
        .address_space:  global
        .offset:         96
        .size:           8
        .value_kind:     global_buffer
    .group_segment_fixed_size: 0
    .kernarg_segment_align: 8
    .kernarg_segment_size: 104
    .language:       OpenCL C
    .language_version:
      - 2
      - 0
    .max_flat_workgroup_size: 117
    .name:           fft_rtc_back_len156_factors_3_4_13_wgs_117_tpt_13_dp_op_CI_CI_unitstride_sbrr_dirReg
    .private_segment_fixed_size: 0
    .sgpr_count:     44
    .sgpr_spill_count: 0
    .symbol:         fft_rtc_back_len156_factors_3_4_13_wgs_117_tpt_13_dp_op_CI_CI_unitstride_sbrr_dirReg.kd
    .uniform_work_group_size: 1
    .uses_dynamic_stack: false
    .vgpr_count:     170
    .vgpr_spill_count: 0
    .wavefront_size: 64
amdhsa.target:   amdgcn-amd-amdhsa--gfx950
amdhsa.version:
  - 1
  - 2
...

	.end_amdgpu_metadata
